;; amdgpu-corpus repo=zjin-lcf/HeCBench kind=compiled arch=gfx906 opt=O3
	.amdgcn_target "amdgcn-amd-amdhsa--gfx906"
	.amdhsa_code_object_version 6
	.text
	.protected	_Z20radixSortBlocksKeysKPKjPjjj ; -- Begin function _Z20radixSortBlocksKeysKPKjPjjj
	.globl	_Z20radixSortBlocksKeysKPKjPjjj
	.p2align	8
	.type	_Z20radixSortBlocksKeysKPKjPjjj,@function
_Z20radixSortBlocksKeysKPKjPjjj:        ; @_Z20radixSortBlocksKeysKPKjPjjj
; %bb.0:
	s_load_dword s0, s[4:5], 0x24
	s_load_dwordx4 s[8:11], s[4:5], 0x0
	s_load_dwordx2 s[12:13], s[4:5], 0x10
	s_waitcnt lgkmcnt(0)
	s_and_b32 s7, s0, 0xffff
	s_mul_i32 s6, s6, s7
	v_add_u32_e32 v1, s6, v0
	v_ashrrev_i32_e32 v2, 31, v1
	v_lshlrev_b64 v[5:6], 4, v[1:2]
	v_mov_b32_e32 v2, s9
	v_add_co_u32_e32 v1, vcc, s8, v5
	v_addc_co_u32_e32 v2, vcc, v2, v6, vcc
	global_load_dwordx4 v[1:4], v[1:2], off
	s_add_i32 s0, s13, s12
	s_cmp_ge_u32 s13, s0
	s_waitcnt vmcnt(0)
	s_barrier
	s_cbranch_scc1 .LBB0_9
; %bb.1:
	v_lshlrev_b32_e32 v7, 1, v0
	v_and_b32_e32 v21, 31, v0
	v_sub_u32_e32 v7, v7, v21
	s_mov_b64 s[0:1], src_shared_base
	v_lshlrev_b32_e32 v7, 2, v7
	v_cmp_eq_u32_e32 vcc, 31, v21
	v_lshrrev_b32_e32 v21, 3, v0
	v_lshlrev_b32_e32 v22, 2, v0
	s_add_i32 s2, s7, -1
	v_mov_b32_e32 v8, s1
	v_add_u32_e32 v9, 0x80, v7
	v_mov_b32_e32 v10, s1
	v_add_u32_e32 v11, 0x7c, v7
	;; [unrolled: 2-line block ×6, first 2 shown]
	v_mov_b32_e32 v20, s1
	v_and_b32_e32 v21, 0x7c, v21
	v_cmp_gt_u32_e64 s[0:1], 32, v0
	v_cmp_eq_u32_e64 s[2:3], s2, v0
	v_lshl_add_u32 v0, s7, 2, v22
	s_lshl_b32 s6, s7, 3
	s_mul_i32 s8, s7, 12
	v_mov_b32_e32 v23, 0
	s_branch .LBB0_3
.LBB0_2:                                ;   in Loop: Header=BB0_3 Depth=1
	s_or_b64 exec, exec, s[4:5]
	s_waitcnt lgkmcnt(0)
	s_barrier
	ds_read_b32 v31, v23 offset:2048
	v_add_u32_e32 v32, v30, v27
	v_cmp_eq_u32_e64 s[4:5], 0, v27
	v_add_u32_e32 v28, v30, v28
	s_add_i32 s13, s13, 1
	s_waitcnt lgkmcnt(0)
	v_add_u32_e32 v31, v31, v22
	v_sub_u32_e32 v33, v31, v30
	v_cndmask_b32_e64 v27, v30, v33, s[4:5]
	v_sub_u32_e32 v30, v31, v32
	v_add_u32_e32 v30, 1, v30
	v_cmp_eq_u32_e64 s[4:5], 0, v26
	v_cndmask_b32_e64 v26, v32, v30, s[4:5]
	v_sub_u32_e32 v30, v31, v28
	v_add_u32_e32 v30, 2, v30
	v_cmp_eq_u32_e64 s[4:5], 0, v25
	v_cndmask_b32_e64 v25, v28, v30, s[4:5]
	v_sub_u32_e32 v28, v31, v29
	v_add_u32_e32 v28, 3, v28
	v_cmp_eq_u32_e64 s[4:5], 0, v24
	v_cndmask_b32_e64 v24, v29, v28, s[4:5]
	v_and_b32_e32 v28, 3, v27
	v_mul_u32_u24_e32 v28, s7, v28
	v_and_b32_e32 v27, -4, v27
	v_lshl_add_u32 v27, v28, 2, v27
	ds_write_b32 v27, v1
	v_and_b32_e32 v1, 3, v26
	v_mul_u32_u24_e32 v1, s7, v1
	v_and_b32_e32 v26, -4, v26
	v_lshl_add_u32 v1, v1, 2, v26
	ds_write_b32 v1, v2
	v_and_b32_e32 v1, 3, v25
	v_mul_u32_u24_e32 v1, s7, v1
	v_and_b32_e32 v2, -4, v25
	v_lshl_add_u32 v1, v1, 2, v2
	ds_write_b32 v1, v3
	v_and_b32_e32 v1, 3, v24
	v_mul_u32_u24_e32 v1, s7, v1
	v_and_b32_e32 v2, -4, v24
	v_lshl_add_u32 v1, v1, 2, v2
	ds_write_b32 v1, v4
	v_add_u32_e32 v3, s6, v22
	v_add_u32_e32 v4, s8, v22
	s_waitcnt lgkmcnt(0)
	s_barrier
	ds_read_b32 v1, v22
	ds_read_b32 v2, v0
	;; [unrolled: 1-line block ×4, first 2 shown]
	s_add_i32 s12, s12, -1
	s_cmp_eq_u32 s12, 0
	s_waitcnt lgkmcnt(0)
	s_barrier
	s_cbranch_scc1 .LBB0_9
.LBB0_3:                                ; =>This Inner Loop Header: Depth=1
	v_not_b32_e32 v24, v1
	v_bfe_u32 v27, v24, s13, 1
	v_not_b32_e32 v24, v2
	v_bfe_u32 v26, v24, s13, 1
	v_not_b32_e32 v24, v3
	v_bfe_u32 v25, v24, s13, 1
	v_not_b32_e32 v24, v4
	v_add_u32_e32 v28, v26, v27
	v_bfe_u32 v24, v24, s13, 1
	v_add_u32_e32 v29, v28, v25
	v_add_u32_e32 v30, v29, v24
	flat_store_dword v[7:8], v23
	s_waitcnt vmcnt(0)
	flat_store_dword v[9:10], v30
	s_waitcnt vmcnt(0)
	flat_load_dword v31, v[11:12] glc
	s_waitcnt vmcnt(0)
	flat_load_dword v32, v[9:10] glc
	s_waitcnt vmcnt(0) lgkmcnt(0)
	v_add_u32_e32 v31, v32, v31
	flat_store_dword v[9:10], v31
	s_waitcnt vmcnt(0)
	flat_load_dword v31, v[13:14] glc
	s_waitcnt vmcnt(0)
	flat_load_dword v32, v[9:10] glc
	s_waitcnt vmcnt(0) lgkmcnt(0)
	v_add_u32_e32 v31, v32, v31
	;; [unrolled: 7-line block ×5, first 2 shown]
	flat_store_dword v[9:10], v31
	s_waitcnt vmcnt(0)
	flat_load_dword v31, v[9:10] glc
	s_waitcnt vmcnt(0) lgkmcnt(0)
	s_barrier
	s_and_saveexec_b64 s[4:5], vcc
; %bb.4:                                ;   in Loop: Header=BB0_3 Depth=1
	ds_write_b32 v21, v31
; %bb.5:                                ;   in Loop: Header=BB0_3 Depth=1
	s_or_b64 exec, exec, s[4:5]
	s_waitcnt lgkmcnt(0)
	s_barrier
	s_and_saveexec_b64 s[4:5], s[0:1]
	s_cbranch_execz .LBB0_7
; %bb.6:                                ;   in Loop: Header=BB0_3 Depth=1
	ds_read_b32 v32, v22
	flat_store_dword v[7:8], v23
	s_waitcnt vmcnt(0) lgkmcnt(0)
	flat_store_dword v[9:10], v32
	s_waitcnt vmcnt(0)
	flat_load_dword v33, v[11:12] glc
	s_waitcnt vmcnt(0)
	flat_load_dword v34, v[9:10] glc
	s_waitcnt vmcnt(0) lgkmcnt(0)
	v_add_u32_e32 v33, v34, v33
	flat_store_dword v[9:10], v33
	s_waitcnt vmcnt(0)
	flat_load_dword v33, v[13:14] glc
	s_waitcnt vmcnt(0)
	flat_load_dword v34, v[9:10] glc
	s_waitcnt vmcnt(0) lgkmcnt(0)
	v_add_u32_e32 v33, v34, v33
	;; [unrolled: 7-line block ×3, first 2 shown]
	flat_store_dword v[9:10], v33
	s_waitcnt vmcnt(0)
	flat_load_dword v33, v[9:10] glc
	s_waitcnt vmcnt(0) lgkmcnt(0)
	v_sub_u32_e32 v32, v33, v32
	ds_write_b32 v22, v32
.LBB0_7:                                ;   in Loop: Header=BB0_3 Depth=1
	s_or_b64 exec, exec, s[4:5]
	s_waitcnt lgkmcnt(0)
	s_barrier
	ds_read_b32 v32, v21
	v_sub_u32_e32 v30, v31, v30
	s_waitcnt lgkmcnt(0)
	v_add_u32_e32 v30, v32, v30
	v_add_u32_e32 v29, v30, v29
	s_and_saveexec_b64 s[4:5], s[2:3]
	s_cbranch_execz .LBB0_2
; %bb.8:                                ;   in Loop: Header=BB0_3 Depth=1
	v_add_u32_e32 v31, v29, v24
	ds_write_b32 v23, v31 offset:2048
	s_branch .LBB0_2
.LBB0_9:
	v_mov_b32_e32 v0, s11
	v_add_co_u32_e32 v5, vcc, s10, v5
	v_addc_co_u32_e32 v6, vcc, v0, v6, vcc
	global_store_dwordx4 v[5:6], v[1:4], off
	s_endpgm
	.section	.rodata,"a",@progbits
	.p2align	6, 0x0
	.amdhsa_kernel _Z20radixSortBlocksKeysKPKjPjjj
		.amdhsa_group_segment_fixed_size 2052
		.amdhsa_private_segment_fixed_size 0
		.amdhsa_kernarg_size 280
		.amdhsa_user_sgpr_count 6
		.amdhsa_user_sgpr_private_segment_buffer 1
		.amdhsa_user_sgpr_dispatch_ptr 0
		.amdhsa_user_sgpr_queue_ptr 0
		.amdhsa_user_sgpr_kernarg_segment_ptr 1
		.amdhsa_user_sgpr_dispatch_id 0
		.amdhsa_user_sgpr_flat_scratch_init 0
		.amdhsa_user_sgpr_private_segment_size 0
		.amdhsa_uses_dynamic_stack 0
		.amdhsa_system_sgpr_private_segment_wavefront_offset 0
		.amdhsa_system_sgpr_workgroup_id_x 1
		.amdhsa_system_sgpr_workgroup_id_y 0
		.amdhsa_system_sgpr_workgroup_id_z 0
		.amdhsa_system_sgpr_workgroup_info 0
		.amdhsa_system_vgpr_workitem_id 0
		.amdhsa_next_free_vgpr 35
		.amdhsa_next_free_sgpr 61
		.amdhsa_reserve_vcc 1
		.amdhsa_reserve_flat_scratch 0
		.amdhsa_float_round_mode_32 0
		.amdhsa_float_round_mode_16_64 0
		.amdhsa_float_denorm_mode_32 3
		.amdhsa_float_denorm_mode_16_64 3
		.amdhsa_dx10_clamp 1
		.amdhsa_ieee_mode 1
		.amdhsa_fp16_overflow 0
		.amdhsa_exception_fp_ieee_invalid_op 0
		.amdhsa_exception_fp_denorm_src 0
		.amdhsa_exception_fp_ieee_div_zero 0
		.amdhsa_exception_fp_ieee_overflow 0
		.amdhsa_exception_fp_ieee_underflow 0
		.amdhsa_exception_fp_ieee_inexact 0
		.amdhsa_exception_int_div_zero 0
	.end_amdhsa_kernel
	.text
.Lfunc_end0:
	.size	_Z20radixSortBlocksKeysKPKjPjjj, .Lfunc_end0-_Z20radixSortBlocksKeysKPKjPjjj
                                        ; -- End function
	.set _Z20radixSortBlocksKeysKPKjPjjj.num_vgpr, 35
	.set _Z20radixSortBlocksKeysKPKjPjjj.num_agpr, 0
	.set _Z20radixSortBlocksKeysKPKjPjjj.numbered_sgpr, 14
	.set _Z20radixSortBlocksKeysKPKjPjjj.num_named_barrier, 0
	.set _Z20radixSortBlocksKeysKPKjPjjj.private_seg_size, 0
	.set _Z20radixSortBlocksKeysKPKjPjjj.uses_vcc, 1
	.set _Z20radixSortBlocksKeysKPKjPjjj.uses_flat_scratch, 0
	.set _Z20radixSortBlocksKeysKPKjPjjj.has_dyn_sized_stack, 0
	.set _Z20radixSortBlocksKeysKPKjPjjj.has_recursion, 0
	.set _Z20radixSortBlocksKeysKPKjPjjj.has_indirect_call, 0
	.section	.AMDGPU.csdata,"",@progbits
; Kernel info:
; codeLenInByte = 1156
; TotalNumSgprs: 18
; NumVgprs: 35
; ScratchSize: 0
; MemoryBound: 0
; FloatMode: 240
; IeeeMode: 1
; LDSByteSize: 2052 bytes/workgroup (compile time only)
; SGPRBlocks: 8
; VGPRBlocks: 8
; NumSGPRsForWavesPerEU: 65
; NumVGPRsForWavesPerEU: 35
; Occupancy: 7
; WaveLimiterHint : 0
; COMPUTE_PGM_RSRC2:SCRATCH_EN: 0
; COMPUTE_PGM_RSRC2:USER_SGPR: 6
; COMPUTE_PGM_RSRC2:TRAP_HANDLER: 0
; COMPUTE_PGM_RSRC2:TGID_X_EN: 1
; COMPUTE_PGM_RSRC2:TGID_Y_EN: 0
; COMPUTE_PGM_RSRC2:TGID_Z_EN: 0
; COMPUTE_PGM_RSRC2:TIDIG_COMP_CNT: 0
	.text
	.protected	_Z17findRadixOffsetsKPKjPjS1_jj ; -- Begin function _Z17findRadixOffsetsKPKjPjS1_jj
	.globl	_Z17findRadixOffsetsKPKjPjS1_jj
	.p2align	8
	.type	_Z17findRadixOffsetsKPKjPjS1_jj,@function
_Z17findRadixOffsetsKPKjPjS1_jj:        ; @_Z17findRadixOffsetsKPKjPjS1_jj
; %bb.0:
	s_load_dword s2, s[4:5], 0x2c
	s_load_dwordx2 s[0:1], s[4:5], 0x0
	s_load_dwordx2 s[8:9], s[4:5], 0x18
	v_mov_b32_e32 v2, 0
	s_waitcnt lgkmcnt(0)
	s_and_b32 s7, s2, 0xffff
	s_mul_i32 s2, s6, s7
	v_add_u32_e32 v1, s2, v0
	v_lshlrev_b64 v[3:4], 3, v[1:2]
	v_mov_b32_e32 v1, s1
	v_add_co_u32_e32 v3, vcc, s0, v3
	v_addc_co_u32_e32 v4, vcc, v1, v4, vcc
	global_load_dwordx2 v[5:6], v[3:4], off
	v_lshlrev_b32_e32 v4, 3, v0
	v_cmp_gt_u32_e32 vcc, 16, v0
	v_lshlrev_b32_e32 v3, 2, v0
	s_waitcnt vmcnt(0)
	v_bfe_u32 v5, v5, s8, 4
	v_bfe_u32 v6, v6, s8, 4
	ds_write_b64 v4, v[5:6]
	s_and_saveexec_b64 s[0:1], vcc
; %bb.1:
	ds_write_b32 v3, v2 offset:1024
; %bb.2:
	s_or_b64 exec, exec, s[0:1]
	v_cmp_ne_u32_e64 s[0:1], 0, v0
	s_waitcnt lgkmcnt(0)
	s_barrier
	s_and_saveexec_b64 s[10:11], s[0:1]
	s_cbranch_execz .LBB1_5
; %bb.3:
	v_sub_u32_e32 v1, v4, v3
	v_add_u32_e32 v1, -4, v1
	ds_read2_b32 v[1:2], v1 offset1:1
	s_waitcnt lgkmcnt(0)
	v_cmp_ne_u32_e64 s[2:3], v2, v1
	s_and_b64 exec, exec, s[2:3]
; %bb.4:
	v_lshlrev_b32_e32 v1, 2, v2
	ds_write_b32 v1, v0 offset:1024
.LBB1_5:
	s_or_b64 exec, exec, s[10:11]
	v_add_u32_e32 v5, s7, v0
	v_lshl_add_u32 v6, v5, 2, -4
	ds_read2_b32 v[1:2], v6 offset1:1
	s_waitcnt lgkmcnt(0)
	v_cmp_ne_u32_e64 s[2:3], v2, v1
	s_and_saveexec_b64 s[10:11], s[2:3]
; %bb.6:
	v_lshlrev_b32_e32 v1, 2, v2
	ds_write_b32 v1, v5 offset:1024
; %bb.7:
	s_or_b64 exec, exec, s[10:11]
	s_waitcnt lgkmcnt(0)
	s_barrier
	s_and_saveexec_b64 s[10:11], vcc
	s_cbranch_execz .LBB1_9
; %bb.8:
	s_load_dwordx2 s[2:3], s[4:5], 0x10
	v_lshl_or_b32 v1, s6, 4, v0
	v_mov_b32_e32 v2, 0
	ds_read_b32 v7, v3 offset:1024
	v_lshlrev_b64 v[1:2], 2, v[1:2]
	s_waitcnt lgkmcnt(0)
	v_mov_b32_e32 v8, s3
	v_add_co_u32_e64 v1, s[2:3], s2, v1
	v_addc_co_u32_e64 v2, s[2:3], v8, v2, s[2:3]
	global_store_dword v[1:2], v7, off
.LBB1_9:
	s_or_b64 exec, exec, s[10:11]
	s_waitcnt vmcnt(0)
	s_barrier
	s_and_saveexec_b64 s[2:3], s[0:1]
	s_cbranch_execz .LBB1_12
; %bb.10:
	v_sub_u32_e32 v1, v4, v3
	v_add_u32_e32 v1, -4, v1
	ds_read2_b32 v[1:2], v1 offset1:1
	s_waitcnt lgkmcnt(0)
	v_cmp_ne_u32_e64 s[0:1], v2, v1
	s_and_b64 exec, exec, s[0:1]
	s_cbranch_execz .LBB1_12
; %bb.11:
	v_lshlrev_b32_e32 v1, 2, v1
	ds_read_b32 v2, v1 offset:1024
	s_waitcnt lgkmcnt(0)
	v_sub_u32_e32 v2, v0, v2
	ds_write_b32 v1, v2 offset:1024
.LBB1_12:
	s_or_b64 exec, exec, s[2:3]
	ds_read2_b32 v[1:2], v6 offset1:1
	s_waitcnt lgkmcnt(0)
	v_cmp_ne_u32_e64 s[0:1], v2, v1
	s_and_saveexec_b64 s[2:3], s[0:1]
	s_cbranch_execz .LBB1_14
; %bb.13:
	v_lshlrev_b32_e32 v1, 2, v1
	ds_read_b32 v2, v1 offset:1024
	s_waitcnt lgkmcnt(0)
	v_sub_u32_e32 v2, v5, v2
	ds_write_b32 v1, v2 offset:1024
.LBB1_14:
	s_or_b64 exec, exec, s[2:3]
	s_add_i32 s0, s7, -1
	v_cmp_eq_u32_e64 s[0:1], s0, v0
	s_and_saveexec_b64 s[2:3], s[0:1]
	s_cbranch_execz .LBB1_16
; %bb.15:
	s_lshl_b32 s0, s7, 3
	s_add_i32 s0, s0, -4
	v_mov_b32_e32 v1, s0
	ds_read_b32 v1, v1
	s_lshl_b32 s0, s7, 1
	s_waitcnt lgkmcnt(0)
	v_lshlrev_b32_e32 v1, 2, v1
	ds_read_b32 v2, v1 offset:1024
	s_waitcnt lgkmcnt(0)
	v_sub_u32_e32 v2, s0, v2
	ds_write_b32 v1, v2 offset:1024
.LBB1_16:
	s_or_b64 exec, exec, s[2:3]
	s_waitcnt lgkmcnt(0)
	s_barrier
	s_and_saveexec_b64 s[0:1], vcc
	s_cbranch_execz .LBB1_18
; %bb.17:
	v_mul_lo_u32 v0, s9, v0
	s_load_dwordx2 s[0:1], s[4:5], 0x8
	v_mov_b32_e32 v1, 0
	ds_read_b32 v3, v3 offset:1024
	v_add_u32_e32 v0, s6, v0
	v_lshlrev_b64 v[0:1], 2, v[0:1]
	s_waitcnt lgkmcnt(0)
	v_mov_b32_e32 v2, s1
	v_add_co_u32_e32 v0, vcc, s0, v0
	v_addc_co_u32_e32 v1, vcc, v2, v1, vcc
	global_store_dword v[0:1], v3, off
.LBB1_18:
	s_endpgm
	.section	.rodata,"a",@progbits
	.p2align	6, 0x0
	.amdhsa_kernel _Z17findRadixOffsetsKPKjPjS1_jj
		.amdhsa_group_segment_fixed_size 1088
		.amdhsa_private_segment_fixed_size 0
		.amdhsa_kernarg_size 288
		.amdhsa_user_sgpr_count 6
		.amdhsa_user_sgpr_private_segment_buffer 1
		.amdhsa_user_sgpr_dispatch_ptr 0
		.amdhsa_user_sgpr_queue_ptr 0
		.amdhsa_user_sgpr_kernarg_segment_ptr 1
		.amdhsa_user_sgpr_dispatch_id 0
		.amdhsa_user_sgpr_flat_scratch_init 0
		.amdhsa_user_sgpr_private_segment_size 0
		.amdhsa_uses_dynamic_stack 0
		.amdhsa_system_sgpr_private_segment_wavefront_offset 0
		.amdhsa_system_sgpr_workgroup_id_x 1
		.amdhsa_system_sgpr_workgroup_id_y 0
		.amdhsa_system_sgpr_workgroup_id_z 0
		.amdhsa_system_sgpr_workgroup_info 0
		.amdhsa_system_vgpr_workitem_id 0
		.amdhsa_next_free_vgpr 9
		.amdhsa_next_free_sgpr 12
		.amdhsa_reserve_vcc 1
		.amdhsa_reserve_flat_scratch 0
		.amdhsa_float_round_mode_32 0
		.amdhsa_float_round_mode_16_64 0
		.amdhsa_float_denorm_mode_32 3
		.amdhsa_float_denorm_mode_16_64 3
		.amdhsa_dx10_clamp 1
		.amdhsa_ieee_mode 1
		.amdhsa_fp16_overflow 0
		.amdhsa_exception_fp_ieee_invalid_op 0
		.amdhsa_exception_fp_denorm_src 0
		.amdhsa_exception_fp_ieee_div_zero 0
		.amdhsa_exception_fp_ieee_overflow 0
		.amdhsa_exception_fp_ieee_underflow 0
		.amdhsa_exception_fp_ieee_inexact 0
		.amdhsa_exception_int_div_zero 0
	.end_amdhsa_kernel
	.text
.Lfunc_end1:
	.size	_Z17findRadixOffsetsKPKjPjS1_jj, .Lfunc_end1-_Z17findRadixOffsetsKPKjPjS1_jj
                                        ; -- End function
	.set _Z17findRadixOffsetsKPKjPjS1_jj.num_vgpr, 9
	.set _Z17findRadixOffsetsKPKjPjS1_jj.num_agpr, 0
	.set _Z17findRadixOffsetsKPKjPjS1_jj.numbered_sgpr, 12
	.set _Z17findRadixOffsetsKPKjPjS1_jj.num_named_barrier, 0
	.set _Z17findRadixOffsetsKPKjPjS1_jj.private_seg_size, 0
	.set _Z17findRadixOffsetsKPKjPjS1_jj.uses_vcc, 1
	.set _Z17findRadixOffsetsKPKjPjS1_jj.uses_flat_scratch, 0
	.set _Z17findRadixOffsetsKPKjPjS1_jj.has_dyn_sized_stack, 0
	.set _Z17findRadixOffsetsKPKjPjS1_jj.has_recursion, 0
	.set _Z17findRadixOffsetsKPKjPjS1_jj.has_indirect_call, 0
	.section	.AMDGPU.csdata,"",@progbits
; Kernel info:
; codeLenInByte = 652
; TotalNumSgprs: 16
; NumVgprs: 9
; ScratchSize: 0
; MemoryBound: 0
; FloatMode: 240
; IeeeMode: 1
; LDSByteSize: 1088 bytes/workgroup (compile time only)
; SGPRBlocks: 1
; VGPRBlocks: 2
; NumSGPRsForWavesPerEU: 16
; NumVGPRsForWavesPerEU: 9
; Occupancy: 10
; WaveLimiterHint : 0
; COMPUTE_PGM_RSRC2:SCRATCH_EN: 0
; COMPUTE_PGM_RSRC2:USER_SGPR: 6
; COMPUTE_PGM_RSRC2:TRAP_HANDLER: 0
; COMPUTE_PGM_RSRC2:TGID_X_EN: 1
; COMPUTE_PGM_RSRC2:TGID_Y_EN: 0
; COMPUTE_PGM_RSRC2:TGID_Z_EN: 0
; COMPUTE_PGM_RSRC2:TIDIG_COMP_CNT: 0
	.text
	.protected	_Z20reorderDataKeysOnlyKPjPKjS_S1_jjj ; -- Begin function _Z20reorderDataKeysOnlyKPjPKjS_S1_jjj
	.globl	_Z20reorderDataKeysOnlyKPjPKjS_S1_jjj
	.p2align	8
	.type	_Z20reorderDataKeysOnlyKPjPKjS_S1_jjj,@function
_Z20reorderDataKeysOnlyKPjPKjS_S1_jjj:  ; @_Z20reorderDataKeysOnlyKPjPKjS_S1_jjj
; %bb.0:
	s_load_dword s7, s[4:5], 0x3c
	s_load_dwordx4 s[0:3], s[4:5], 0x0
	s_load_dwordx4 s[8:11], s[4:5], 0x20
	v_mov_b32_e32 v2, 0
	s_waitcnt lgkmcnt(0)
	s_and_b32 s7, s7, 0xffff
	s_mul_i32 s11, s6, s7
	v_add_u32_e32 v1, s11, v0
	v_lshlrev_b64 v[3:4], 3, v[1:2]
	v_mov_b32_e32 v1, s3
	v_add_co_u32_e32 v3, vcc, s2, v3
	v_addc_co_u32_e32 v4, vcc, v1, v4, vcc
	global_load_dwordx2 v[4:5], v[3:4], off
	v_lshlrev_b32_e32 v3, 3, v0
	v_cmp_gt_u32_e32 vcc, 16, v0
	s_waitcnt vmcnt(0)
	ds_write_b64 v3, v[4:5]
	v_lshlrev_b32_e32 v4, 2, v0
	s_and_saveexec_b64 s[2:3], vcc
	s_cbranch_execz .LBB2_2
; %bb.1:
	v_mul_lo_u32 v1, s10, v0
	s_load_dwordx4 s[12:15], s[4:5], 0x10
	v_add_u32_e32 v1, s6, v1
	v_lshlrev_b64 v[5:6], 2, v[1:2]
	s_waitcnt lgkmcnt(0)
	v_mov_b32_e32 v1, s15
	v_add_co_u32_e32 v5, vcc, s14, v5
	v_addc_co_u32_e32 v6, vcc, v1, v6, vcc
	v_lshl_or_b32 v1, s6, 4, v0
	v_lshlrev_b64 v[1:2], 2, v[1:2]
	global_load_dword v5, v[5:6], off
	v_mov_b32_e32 v6, s13
	v_add_co_u32_e32 v1, vcc, s12, v1
	v_addc_co_u32_e32 v2, vcc, v6, v2, vcc
	global_load_dword v1, v[1:2], off
	v_add_u32_e32 v2, 0x400, v4
	s_waitcnt vmcnt(0)
	ds_write2_b32 v2, v1, v5 offset1:16
.LBB2_2:
	s_or_b64 exec, exec, s[2:3]
	v_sub_u32_e32 v3, v3, v4
	s_waitcnt lgkmcnt(0)
	s_barrier
	ds_read_b32 v4, v3
	s_waitcnt lgkmcnt(0)
	v_bfe_u32 v1, v4, s8, 4
	v_lshlrev_b32_e32 v1, 2, v1
	v_add_u32_e32 v1, 0x400, v1
	ds_read2_b32 v[1:2], v1 offset1:16
	s_waitcnt lgkmcnt(0)
	v_add_u32_e32 v2, v2, v0
	v_sub_u32_e32 v1, v2, v1
	v_cmp_gt_u32_e32 vcc, s9, v1
	s_and_saveexec_b64 s[2:3], vcc
	s_cbranch_execz .LBB2_4
; %bb.3:
	v_mov_b32_e32 v2, 0
	v_lshlrev_b64 v[1:2], 2, v[1:2]
	v_mov_b32_e32 v5, s1
	v_add_co_u32_e32 v1, vcc, s0, v1
	v_addc_co_u32_e32 v2, vcc, v5, v2, vcc
	global_store_dword v[1:2], v4, off
.LBB2_4:
	s_or_b64 exec, exec, s[2:3]
	v_lshl_add_u32 v1, s7, 2, v3
	ds_read_b32 v2, v1
	s_waitcnt lgkmcnt(0)
	v_bfe_u32 v1, v2, s8, 4
	v_lshlrev_b32_e32 v1, 2, v1
	v_add_u32_e32 v1, 0x400, v1
	ds_read2_b32 v[3:4], v1 offset1:16
	s_waitcnt lgkmcnt(0)
	v_add3_u32 v0, v0, s7, v4
	v_sub_u32_e32 v0, v0, v3
	v_cmp_gt_u32_e32 vcc, s9, v0
	s_and_saveexec_b64 s[2:3], vcc
	s_cbranch_execz .LBB2_6
; %bb.5:
	v_mov_b32_e32 v1, 0
	v_lshlrev_b64 v[0:1], 2, v[0:1]
	v_mov_b32_e32 v3, s1
	v_add_co_u32_e32 v0, vcc, s0, v0
	v_addc_co_u32_e32 v1, vcc, v3, v1, vcc
	global_store_dword v[0:1], v2, off
.LBB2_6:
	s_endpgm
	.section	.rodata,"a",@progbits
	.p2align	6, 0x0
	.amdhsa_kernel _Z20reorderDataKeysOnlyKPjPKjS_S1_jjj
		.amdhsa_group_segment_fixed_size 1152
		.amdhsa_private_segment_fixed_size 0
		.amdhsa_kernarg_size 304
		.amdhsa_user_sgpr_count 6
		.amdhsa_user_sgpr_private_segment_buffer 1
		.amdhsa_user_sgpr_dispatch_ptr 0
		.amdhsa_user_sgpr_queue_ptr 0
		.amdhsa_user_sgpr_kernarg_segment_ptr 1
		.amdhsa_user_sgpr_dispatch_id 0
		.amdhsa_user_sgpr_flat_scratch_init 0
		.amdhsa_user_sgpr_private_segment_size 0
		.amdhsa_uses_dynamic_stack 0
		.amdhsa_system_sgpr_private_segment_wavefront_offset 0
		.amdhsa_system_sgpr_workgroup_id_x 1
		.amdhsa_system_sgpr_workgroup_id_y 0
		.amdhsa_system_sgpr_workgroup_id_z 0
		.amdhsa_system_sgpr_workgroup_info 0
		.amdhsa_system_vgpr_workitem_id 0
		.amdhsa_next_free_vgpr 7
		.amdhsa_next_free_sgpr 16
		.amdhsa_reserve_vcc 1
		.amdhsa_reserve_flat_scratch 0
		.amdhsa_float_round_mode_32 0
		.amdhsa_float_round_mode_16_64 0
		.amdhsa_float_denorm_mode_32 3
		.amdhsa_float_denorm_mode_16_64 3
		.amdhsa_dx10_clamp 1
		.amdhsa_ieee_mode 1
		.amdhsa_fp16_overflow 0
		.amdhsa_exception_fp_ieee_invalid_op 0
		.amdhsa_exception_fp_denorm_src 0
		.amdhsa_exception_fp_ieee_div_zero 0
		.amdhsa_exception_fp_ieee_overflow 0
		.amdhsa_exception_fp_ieee_underflow 0
		.amdhsa_exception_fp_ieee_inexact 0
		.amdhsa_exception_int_div_zero 0
	.end_amdhsa_kernel
	.text
.Lfunc_end2:
	.size	_Z20reorderDataKeysOnlyKPjPKjS_S1_jjj, .Lfunc_end2-_Z20reorderDataKeysOnlyKPjPKjS_S1_jjj
                                        ; -- End function
	.set _Z20reorderDataKeysOnlyKPjPKjS_S1_jjj.num_vgpr, 7
	.set _Z20reorderDataKeysOnlyKPjPKjS_S1_jjj.num_agpr, 0
	.set _Z20reorderDataKeysOnlyKPjPKjS_S1_jjj.numbered_sgpr, 16
	.set _Z20reorderDataKeysOnlyKPjPKjS_S1_jjj.num_named_barrier, 0
	.set _Z20reorderDataKeysOnlyKPjPKjS_S1_jjj.private_seg_size, 0
	.set _Z20reorderDataKeysOnlyKPjPKjS_S1_jjj.uses_vcc, 1
	.set _Z20reorderDataKeysOnlyKPjPKjS_S1_jjj.uses_flat_scratch, 0
	.set _Z20reorderDataKeysOnlyKPjPKjS_S1_jjj.has_dyn_sized_stack, 0
	.set _Z20reorderDataKeysOnlyKPjPKjS_S1_jjj.has_recursion, 0
	.set _Z20reorderDataKeysOnlyKPjPKjS_S1_jjj.has_indirect_call, 0
	.section	.AMDGPU.csdata,"",@progbits
; Kernel info:
; codeLenInByte = 444
; TotalNumSgprs: 20
; NumVgprs: 7
; ScratchSize: 0
; MemoryBound: 0
; FloatMode: 240
; IeeeMode: 1
; LDSByteSize: 1152 bytes/workgroup (compile time only)
; SGPRBlocks: 2
; VGPRBlocks: 1
; NumSGPRsForWavesPerEU: 20
; NumVGPRsForWavesPerEU: 7
; Occupancy: 10
; WaveLimiterHint : 0
; COMPUTE_PGM_RSRC2:SCRATCH_EN: 0
; COMPUTE_PGM_RSRC2:USER_SGPR: 6
; COMPUTE_PGM_RSRC2:TRAP_HANDLER: 0
; COMPUTE_PGM_RSRC2:TGID_X_EN: 1
; COMPUTE_PGM_RSRC2:TGID_Y_EN: 0
; COMPUTE_PGM_RSRC2:TGID_Z_EN: 0
; COMPUTE_PGM_RSRC2:TIDIG_COMP_CNT: 0
	.section	.AMDGPU.gpr_maximums,"",@progbits
	.set amdgpu.max_num_vgpr, 0
	.set amdgpu.max_num_agpr, 0
	.set amdgpu.max_num_sgpr, 0
	.section	.AMDGPU.csdata,"",@progbits
	.type	__hip_cuid_e5732ad5d7ef3305,@object ; @__hip_cuid_e5732ad5d7ef3305
	.section	.bss,"aw",@nobits
	.globl	__hip_cuid_e5732ad5d7ef3305
__hip_cuid_e5732ad5d7ef3305:
	.byte	0                               ; 0x0
	.size	__hip_cuid_e5732ad5d7ef3305, 1

	.ident	"AMD clang version 22.0.0git (https://github.com/RadeonOpenCompute/llvm-project roc-7.2.4 26084 f58b06dce1f9c15707c5f808fd002e18c2accf7e)"
	.section	".note.GNU-stack","",@progbits
	.addrsig
	.addrsig_sym __hip_cuid_e5732ad5d7ef3305
	.amdgpu_metadata
---
amdhsa.kernels:
  - .args:
      - .actual_access:  read_only
        .address_space:  global
        .offset:         0
        .size:           8
        .value_kind:     global_buffer
      - .actual_access:  write_only
        .address_space:  global
        .offset:         8
        .size:           8
        .value_kind:     global_buffer
      - .offset:         16
        .size:           4
        .value_kind:     by_value
      - .offset:         20
        .size:           4
        .value_kind:     by_value
      - .offset:         24
        .size:           4
        .value_kind:     hidden_block_count_x
      - .offset:         28
        .size:           4
        .value_kind:     hidden_block_count_y
      - .offset:         32
        .size:           4
        .value_kind:     hidden_block_count_z
      - .offset:         36
        .size:           2
        .value_kind:     hidden_group_size_x
      - .offset:         38
        .size:           2
        .value_kind:     hidden_group_size_y
      - .offset:         40
        .size:           2
        .value_kind:     hidden_group_size_z
      - .offset:         42
        .size:           2
        .value_kind:     hidden_remainder_x
      - .offset:         44
        .size:           2
        .value_kind:     hidden_remainder_y
      - .offset:         46
        .size:           2
        .value_kind:     hidden_remainder_z
      - .offset:         64
        .size:           8
        .value_kind:     hidden_global_offset_x
      - .offset:         72
        .size:           8
        .value_kind:     hidden_global_offset_y
      - .offset:         80
        .size:           8
        .value_kind:     hidden_global_offset_z
      - .offset:         88
        .size:           2
        .value_kind:     hidden_grid_dims
    .group_segment_fixed_size: 2052
    .kernarg_segment_align: 8
    .kernarg_segment_size: 280
    .language:       OpenCL C
    .language_version:
      - 2
      - 0
    .max_flat_workgroup_size: 1024
    .name:           _Z20radixSortBlocksKeysKPKjPjjj
    .private_segment_fixed_size: 0
    .sgpr_count:     18
    .sgpr_spill_count: 0
    .symbol:         _Z20radixSortBlocksKeysKPKjPjjj.kd
    .uniform_work_group_size: 1
    .uses_dynamic_stack: false
    .vgpr_count:     35
    .vgpr_spill_count: 0
    .wavefront_size: 64
  - .args:
      - .actual_access:  read_only
        .address_space:  global
        .offset:         0
        .size:           8
        .value_kind:     global_buffer
      - .actual_access:  write_only
        .address_space:  global
        .offset:         8
        .size:           8
        .value_kind:     global_buffer
      - .actual_access:  write_only
        .address_space:  global
        .offset:         16
        .size:           8
        .value_kind:     global_buffer
      - .offset:         24
        .size:           4
        .value_kind:     by_value
      - .offset:         28
        .size:           4
        .value_kind:     by_value
      - .offset:         32
        .size:           4
        .value_kind:     hidden_block_count_x
      - .offset:         36
        .size:           4
        .value_kind:     hidden_block_count_y
      - .offset:         40
        .size:           4
        .value_kind:     hidden_block_count_z
      - .offset:         44
        .size:           2
        .value_kind:     hidden_group_size_x
      - .offset:         46
        .size:           2
        .value_kind:     hidden_group_size_y
      - .offset:         48
        .size:           2
        .value_kind:     hidden_group_size_z
      - .offset:         50
        .size:           2
        .value_kind:     hidden_remainder_x
      - .offset:         52
        .size:           2
        .value_kind:     hidden_remainder_y
      - .offset:         54
        .size:           2
        .value_kind:     hidden_remainder_z
      - .offset:         72
        .size:           8
        .value_kind:     hidden_global_offset_x
      - .offset:         80
        .size:           8
        .value_kind:     hidden_global_offset_y
      - .offset:         88
        .size:           8
        .value_kind:     hidden_global_offset_z
      - .offset:         96
        .size:           2
        .value_kind:     hidden_grid_dims
    .group_segment_fixed_size: 1088
    .kernarg_segment_align: 8
    .kernarg_segment_size: 288
    .language:       OpenCL C
    .language_version:
      - 2
      - 0
    .max_flat_workgroup_size: 1024
    .name:           _Z17findRadixOffsetsKPKjPjS1_jj
    .private_segment_fixed_size: 0
    .sgpr_count:     16
    .sgpr_spill_count: 0
    .symbol:         _Z17findRadixOffsetsKPKjPjS1_jj.kd
    .uniform_work_group_size: 1
    .uses_dynamic_stack: false
    .vgpr_count:     9
    .vgpr_spill_count: 0
    .wavefront_size: 64
  - .args:
      - .actual_access:  write_only
        .address_space:  global
        .offset:         0
        .size:           8
        .value_kind:     global_buffer
      - .actual_access:  read_only
        .address_space:  global
        .offset:         8
        .size:           8
        .value_kind:     global_buffer
      - .actual_access:  read_only
        .address_space:  global
        .offset:         16
        .size:           8
        .value_kind:     global_buffer
      - .actual_access:  read_only
        .address_space:  global
        .offset:         24
        .size:           8
        .value_kind:     global_buffer
      - .offset:         32
        .size:           4
        .value_kind:     by_value
      - .offset:         36
        .size:           4
        .value_kind:     by_value
      - .offset:         40
        .size:           4
        .value_kind:     by_value
      - .offset:         48
        .size:           4
        .value_kind:     hidden_block_count_x
      - .offset:         52
        .size:           4
        .value_kind:     hidden_block_count_y
      - .offset:         56
        .size:           4
        .value_kind:     hidden_block_count_z
      - .offset:         60
        .size:           2
        .value_kind:     hidden_group_size_x
      - .offset:         62
        .size:           2
        .value_kind:     hidden_group_size_y
      - .offset:         64
        .size:           2
        .value_kind:     hidden_group_size_z
      - .offset:         66
        .size:           2
        .value_kind:     hidden_remainder_x
      - .offset:         68
        .size:           2
        .value_kind:     hidden_remainder_y
      - .offset:         70
        .size:           2
        .value_kind:     hidden_remainder_z
      - .offset:         88
        .size:           8
        .value_kind:     hidden_global_offset_x
      - .offset:         96
        .size:           8
        .value_kind:     hidden_global_offset_y
      - .offset:         104
        .size:           8
        .value_kind:     hidden_global_offset_z
      - .offset:         112
        .size:           2
        .value_kind:     hidden_grid_dims
    .group_segment_fixed_size: 1152
    .kernarg_segment_align: 8
    .kernarg_segment_size: 304
    .language:       OpenCL C
    .language_version:
      - 2
      - 0
    .max_flat_workgroup_size: 1024
    .name:           _Z20reorderDataKeysOnlyKPjPKjS_S1_jjj
    .private_segment_fixed_size: 0
    .sgpr_count:     20
    .sgpr_spill_count: 0
    .symbol:         _Z20reorderDataKeysOnlyKPjPKjS_S1_jjj.kd
    .uniform_work_group_size: 1
    .uses_dynamic_stack: false
    .vgpr_count:     7
    .vgpr_spill_count: 0
    .wavefront_size: 64
amdhsa.target:   amdgcn-amd-amdhsa--gfx906
amdhsa.version:
  - 1
  - 2
...

	.end_amdgpu_metadata
